;; amdgpu-corpus repo=ROCm/rocFFT kind=compiled arch=gfx1201 opt=O3
	.text
	.amdgcn_target "amdgcn-amd-amdhsa--gfx1201"
	.amdhsa_code_object_version 6
	.protected	fft_rtc_back_len143_factors_13_11_wgs_182_tpt_13_half_ip_CI_sbrr_dirReg ; -- Begin function fft_rtc_back_len143_factors_13_11_wgs_182_tpt_13_half_ip_CI_sbrr_dirReg
	.globl	fft_rtc_back_len143_factors_13_11_wgs_182_tpt_13_half_ip_CI_sbrr_dirReg
	.p2align	8
	.type	fft_rtc_back_len143_factors_13_11_wgs_182_tpt_13_half_ip_CI_sbrr_dirReg,@function
fft_rtc_back_len143_factors_13_11_wgs_182_tpt_13_half_ip_CI_sbrr_dirReg: ; @fft_rtc_back_len143_factors_13_11_wgs_182_tpt_13_half_ip_CI_sbrr_dirReg
; %bb.0:
	s_clause 0x1
	s_load_b64 s[12:13], s[0:1], 0x18
	s_load_b128 s[4:7], s[0:1], 0x0
	v_mul_u32_u24_e32 v1, 0x13b2, v0
	v_mov_b32_e32 v5, 0
	s_load_b64 s[10:11], s[0:1], 0x50
	s_wait_kmcnt 0x0
	s_load_b64 s[8:9], s[12:13], 0x0
	v_lshrrev_b32_e32 v1, 16, v1
	v_cmp_lt_u64_e64 s2, s[6:7], 2
	s_delay_alu instid0(VALU_DEP_2) | instskip(SKIP_4) | instid1(VALU_DEP_1)
	v_mad_co_u64_u32 v[1:2], null, ttmp9, 14, v[1:2]
	v_mov_b32_e32 v3, 0
	v_mov_b32_e32 v4, 0
	;; [unrolled: 1-line block ×3, first 2 shown]
	s_and_b32 vcc_lo, exec_lo, s2
	v_dual_mov_b32 v11, v2 :: v_dual_mov_b32 v10, v1
	s_cbranch_vccnz .LBB0_8
; %bb.1:
	s_load_b64 s[2:3], s[0:1], 0x10
	v_dual_mov_b32 v3, 0 :: v_dual_mov_b32 v8, v2
	v_dual_mov_b32 v4, 0 :: v_dual_mov_b32 v7, v1
	s_add_nc_u64 s[14:15], s[12:13], 8
	s_mov_b64 s[16:17], 1
	s_wait_kmcnt 0x0
	s_add_nc_u64 s[18:19], s[2:3], 8
	s_mov_b32 s3, 0
.LBB0_2:                                ; =>This Inner Loop Header: Depth=1
	s_load_b64 s[20:21], s[18:19], 0x0
                                        ; implicit-def: $vgpr10_vgpr11
	s_mov_b32 s2, exec_lo
	s_wait_kmcnt 0x0
	v_or_b32_e32 v6, s21, v8
	s_delay_alu instid0(VALU_DEP_1)
	v_cmpx_ne_u64_e32 0, v[5:6]
	s_wait_alu 0xfffe
	s_xor_b32 s22, exec_lo, s2
	s_cbranch_execz .LBB0_4
; %bb.3:                                ;   in Loop: Header=BB0_2 Depth=1
	s_cvt_f32_u32 s2, s20
	s_cvt_f32_u32 s23, s21
	s_sub_nc_u64 s[26:27], 0, s[20:21]
	s_wait_alu 0xfffe
	s_delay_alu instid0(SALU_CYCLE_1) | instskip(SKIP_1) | instid1(SALU_CYCLE_2)
	s_fmamk_f32 s2, s23, 0x4f800000, s2
	s_wait_alu 0xfffe
	v_s_rcp_f32 s2, s2
	s_delay_alu instid0(TRANS32_DEP_1) | instskip(SKIP_1) | instid1(SALU_CYCLE_2)
	s_mul_f32 s2, s2, 0x5f7ffffc
	s_wait_alu 0xfffe
	s_mul_f32 s23, s2, 0x2f800000
	s_wait_alu 0xfffe
	s_delay_alu instid0(SALU_CYCLE_2) | instskip(SKIP_1) | instid1(SALU_CYCLE_2)
	s_trunc_f32 s23, s23
	s_wait_alu 0xfffe
	s_fmamk_f32 s2, s23, 0xcf800000, s2
	s_cvt_u32_f32 s25, s23
	s_wait_alu 0xfffe
	s_delay_alu instid0(SALU_CYCLE_1) | instskip(SKIP_1) | instid1(SALU_CYCLE_2)
	s_cvt_u32_f32 s24, s2
	s_wait_alu 0xfffe
	s_mul_u64 s[28:29], s[26:27], s[24:25]
	s_wait_alu 0xfffe
	s_mul_hi_u32 s31, s24, s29
	s_mul_i32 s30, s24, s29
	s_mul_hi_u32 s2, s24, s28
	s_mul_i32 s33, s25, s28
	s_wait_alu 0xfffe
	s_add_nc_u64 s[30:31], s[2:3], s[30:31]
	s_mul_hi_u32 s23, s25, s28
	s_mul_hi_u32 s34, s25, s29
	s_add_co_u32 s2, s30, s33
	s_wait_alu 0xfffe
	s_add_co_ci_u32 s2, s31, s23
	s_mul_i32 s28, s25, s29
	s_add_co_ci_u32 s29, s34, 0
	s_wait_alu 0xfffe
	s_add_nc_u64 s[28:29], s[2:3], s[28:29]
	s_wait_alu 0xfffe
	v_add_co_u32 v2, s2, s24, s28
	s_delay_alu instid0(VALU_DEP_1) | instskip(SKIP_1) | instid1(VALU_DEP_1)
	s_cmp_lg_u32 s2, 0
	s_add_co_ci_u32 s25, s25, s29
	v_readfirstlane_b32 s24, v2
	s_wait_alu 0xfffe
	s_delay_alu instid0(VALU_DEP_1)
	s_mul_u64 s[26:27], s[26:27], s[24:25]
	s_wait_alu 0xfffe
	s_mul_hi_u32 s29, s24, s27
	s_mul_i32 s28, s24, s27
	s_mul_hi_u32 s2, s24, s26
	s_mul_i32 s30, s25, s26
	s_wait_alu 0xfffe
	s_add_nc_u64 s[28:29], s[2:3], s[28:29]
	s_mul_hi_u32 s23, s25, s26
	s_mul_hi_u32 s24, s25, s27
	s_wait_alu 0xfffe
	s_add_co_u32 s2, s28, s30
	s_add_co_ci_u32 s2, s29, s23
	s_mul_i32 s26, s25, s27
	s_add_co_ci_u32 s27, s24, 0
	s_wait_alu 0xfffe
	s_add_nc_u64 s[26:27], s[2:3], s[26:27]
	s_wait_alu 0xfffe
	v_add_co_u32 v2, s2, v2, s26
	s_delay_alu instid0(VALU_DEP_1) | instskip(SKIP_1) | instid1(VALU_DEP_1)
	s_cmp_lg_u32 s2, 0
	s_add_co_ci_u32 s2, s25, s27
	v_mul_hi_u32 v6, v7, v2
	s_wait_alu 0xfffe
	v_mad_co_u64_u32 v[9:10], null, v7, s2, 0
	v_mad_co_u64_u32 v[11:12], null, v8, v2, 0
	;; [unrolled: 1-line block ×3, first 2 shown]
	s_delay_alu instid0(VALU_DEP_3) | instskip(SKIP_1) | instid1(VALU_DEP_4)
	v_add_co_u32 v2, vcc_lo, v6, v9
	s_wait_alu 0xfffd
	v_add_co_ci_u32_e32 v6, vcc_lo, 0, v10, vcc_lo
	s_delay_alu instid0(VALU_DEP_2) | instskip(SKIP_1) | instid1(VALU_DEP_2)
	v_add_co_u32 v2, vcc_lo, v2, v11
	s_wait_alu 0xfffd
	v_add_co_ci_u32_e32 v2, vcc_lo, v6, v12, vcc_lo
	s_wait_alu 0xfffd
	v_add_co_ci_u32_e32 v6, vcc_lo, 0, v14, vcc_lo
	s_delay_alu instid0(VALU_DEP_2) | instskip(SKIP_1) | instid1(VALU_DEP_2)
	v_add_co_u32 v2, vcc_lo, v2, v13
	s_wait_alu 0xfffd
	v_add_co_ci_u32_e32 v6, vcc_lo, 0, v6, vcc_lo
	s_delay_alu instid0(VALU_DEP_2) | instskip(SKIP_1) | instid1(VALU_DEP_3)
	v_mul_lo_u32 v11, s21, v2
	v_mad_co_u64_u32 v[9:10], null, s20, v2, 0
	v_mul_lo_u32 v12, s20, v6
	s_delay_alu instid0(VALU_DEP_2) | instskip(NEXT) | instid1(VALU_DEP_2)
	v_sub_co_u32 v9, vcc_lo, v7, v9
	v_add3_u32 v10, v10, v12, v11
	s_delay_alu instid0(VALU_DEP_1) | instskip(SKIP_1) | instid1(VALU_DEP_1)
	v_sub_nc_u32_e32 v11, v8, v10
	s_wait_alu 0xfffd
	v_subrev_co_ci_u32_e64 v11, s2, s21, v11, vcc_lo
	v_add_co_u32 v12, s2, v2, 2
	s_wait_alu 0xf1ff
	v_add_co_ci_u32_e64 v13, s2, 0, v6, s2
	v_sub_co_u32 v14, s2, v9, s20
	v_sub_co_ci_u32_e32 v10, vcc_lo, v8, v10, vcc_lo
	s_wait_alu 0xf1ff
	v_subrev_co_ci_u32_e64 v11, s2, 0, v11, s2
	s_delay_alu instid0(VALU_DEP_3) | instskip(NEXT) | instid1(VALU_DEP_3)
	v_cmp_le_u32_e32 vcc_lo, s20, v14
	v_cmp_eq_u32_e64 s2, s21, v10
	s_wait_alu 0xfffd
	v_cndmask_b32_e64 v14, 0, -1, vcc_lo
	v_cmp_le_u32_e32 vcc_lo, s21, v11
	s_wait_alu 0xfffd
	v_cndmask_b32_e64 v15, 0, -1, vcc_lo
	v_cmp_le_u32_e32 vcc_lo, s20, v9
	;; [unrolled: 3-line block ×3, first 2 shown]
	s_wait_alu 0xfffd
	v_cndmask_b32_e64 v16, 0, -1, vcc_lo
	v_cmp_eq_u32_e32 vcc_lo, s21, v11
	s_wait_alu 0xf1ff
	s_delay_alu instid0(VALU_DEP_2)
	v_cndmask_b32_e64 v9, v16, v9, s2
	s_wait_alu 0xfffd
	v_cndmask_b32_e32 v11, v15, v14, vcc_lo
	v_add_co_u32 v14, vcc_lo, v2, 1
	s_wait_alu 0xfffd
	v_add_co_ci_u32_e32 v15, vcc_lo, 0, v6, vcc_lo
	s_delay_alu instid0(VALU_DEP_3) | instskip(SKIP_2) | instid1(VALU_DEP_3)
	v_cmp_ne_u32_e32 vcc_lo, 0, v11
	s_wait_alu 0xfffd
	v_cndmask_b32_e32 v12, v14, v12, vcc_lo
	v_cndmask_b32_e32 v10, v15, v13, vcc_lo
	v_cmp_ne_u32_e32 vcc_lo, 0, v9
	s_wait_alu 0xfffd
	s_delay_alu instid0(VALU_DEP_2)
	v_cndmask_b32_e32 v11, v6, v10, vcc_lo
	v_cndmask_b32_e32 v10, v2, v12, vcc_lo
.LBB0_4:                                ;   in Loop: Header=BB0_2 Depth=1
	s_wait_alu 0xfffe
	s_and_not1_saveexec_b32 s2, s22
	s_cbranch_execz .LBB0_6
; %bb.5:                                ;   in Loop: Header=BB0_2 Depth=1
	v_cvt_f32_u32_e32 v2, s20
	s_sub_co_i32 s22, 0, s20
	v_mov_b32_e32 v11, v5
	s_delay_alu instid0(VALU_DEP_2) | instskip(NEXT) | instid1(TRANS32_DEP_1)
	v_rcp_iflag_f32_e32 v2, v2
	v_mul_f32_e32 v2, 0x4f7ffffe, v2
	s_delay_alu instid0(VALU_DEP_1) | instskip(SKIP_1) | instid1(VALU_DEP_1)
	v_cvt_u32_f32_e32 v2, v2
	s_wait_alu 0xfffe
	v_mul_lo_u32 v6, s22, v2
	s_delay_alu instid0(VALU_DEP_1) | instskip(NEXT) | instid1(VALU_DEP_1)
	v_mul_hi_u32 v6, v2, v6
	v_add_nc_u32_e32 v2, v2, v6
	s_delay_alu instid0(VALU_DEP_1) | instskip(NEXT) | instid1(VALU_DEP_1)
	v_mul_hi_u32 v2, v7, v2
	v_mul_lo_u32 v6, v2, s20
	v_add_nc_u32_e32 v9, 1, v2
	s_delay_alu instid0(VALU_DEP_2) | instskip(NEXT) | instid1(VALU_DEP_1)
	v_sub_nc_u32_e32 v6, v7, v6
	v_subrev_nc_u32_e32 v10, s20, v6
	v_cmp_le_u32_e32 vcc_lo, s20, v6
	s_wait_alu 0xfffd
	s_delay_alu instid0(VALU_DEP_2) | instskip(SKIP_1) | instid1(VALU_DEP_2)
	v_cndmask_b32_e32 v6, v6, v10, vcc_lo
	v_cndmask_b32_e32 v2, v2, v9, vcc_lo
	v_cmp_le_u32_e32 vcc_lo, s20, v6
	s_delay_alu instid0(VALU_DEP_2) | instskip(SKIP_1) | instid1(VALU_DEP_1)
	v_add_nc_u32_e32 v9, 1, v2
	s_wait_alu 0xfffd
	v_cndmask_b32_e32 v10, v2, v9, vcc_lo
.LBB0_6:                                ;   in Loop: Header=BB0_2 Depth=1
	s_wait_alu 0xfffe
	s_or_b32 exec_lo, exec_lo, s2
	s_load_b64 s[22:23], s[14:15], 0x0
	v_mul_lo_u32 v2, v11, s20
	v_mul_lo_u32 v6, v10, s21
	v_mad_co_u64_u32 v[12:13], null, v10, s20, 0
	s_add_nc_u64 s[16:17], s[16:17], 1
	s_add_nc_u64 s[14:15], s[14:15], 8
	s_wait_alu 0xfffe
	v_cmp_ge_u64_e64 s2, s[16:17], s[6:7]
	s_add_nc_u64 s[18:19], s[18:19], 8
	s_delay_alu instid0(VALU_DEP_2) | instskip(NEXT) | instid1(VALU_DEP_3)
	v_add3_u32 v2, v13, v6, v2
	v_sub_co_u32 v6, vcc_lo, v7, v12
	s_wait_alu 0xfffd
	s_delay_alu instid0(VALU_DEP_2) | instskip(SKIP_3) | instid1(VALU_DEP_2)
	v_sub_co_ci_u32_e32 v2, vcc_lo, v8, v2, vcc_lo
	s_and_b32 vcc_lo, exec_lo, s2
	s_wait_kmcnt 0x0
	v_mul_lo_u32 v7, s23, v6
	v_mul_lo_u32 v2, s22, v2
	v_mad_co_u64_u32 v[3:4], null, s22, v6, v[3:4]
	s_delay_alu instid0(VALU_DEP_1)
	v_add3_u32 v4, v7, v4, v2
	s_wait_alu 0xfffe
	s_cbranch_vccnz .LBB0_8
; %bb.7:                                ;   in Loop: Header=BB0_2 Depth=1
	v_dual_mov_b32 v7, v10 :: v_dual_mov_b32 v8, v11
	s_branch .LBB0_2
.LBB0_8:
	s_lshl_b64 s[2:3], s[6:7], 3
	v_mul_hi_u32 v2, 0x13b13b14, v0
	s_wait_alu 0xfffe
	s_add_nc_u64 s[2:3], s[12:13], s[2:3]
	v_mov_b32_e32 v12, 0
	s_load_b64 s[2:3], s[2:3], 0x0
	s_load_b64 s[0:1], s[0:1], 0x20
                                        ; implicit-def: $vgpr7
                                        ; implicit-def: $vgpr15
                                        ; implicit-def: $vgpr16
                                        ; implicit-def: $vgpr17
                                        ; implicit-def: $vgpr18
	s_delay_alu instid0(VALU_DEP_2) | instskip(NEXT) | instid1(VALU_DEP_1)
	v_mul_u32_u24_e32 v2, 13, v2
	v_sub_nc_u32_e32 v14, v0, v2
                                        ; implicit-def: $vgpr2
                                        ; implicit-def: $vgpr0
	s_wait_kmcnt 0x0
	v_mul_lo_u32 v5, s2, v11
	v_mul_lo_u32 v6, s3, v10
	v_mad_co_u64_u32 v[8:9], null, s2, v10, v[3:4]
	v_cmp_gt_u64_e32 vcc_lo, s[0:1], v[10:11]
                                        ; implicit-def: $vgpr4
                                        ; implicit-def: $vgpr10
                                        ; implicit-def: $vgpr11
                                        ; implicit-def: $vgpr3
	s_delay_alu instid0(VALU_DEP_2)
	v_add3_u32 v9, v6, v9, v5
                                        ; implicit-def: $vgpr6
                                        ; implicit-def: $vgpr5
	s_and_saveexec_b32 s1, vcc_lo
	s_cbranch_execz .LBB0_12
; %bb.9:
	s_mov_b32 s2, exec_lo
                                        ; implicit-def: $vgpr0
                                        ; implicit-def: $vgpr18
                                        ; implicit-def: $vgpr2
                                        ; implicit-def: $vgpr17
                                        ; implicit-def: $vgpr3
                                        ; implicit-def: $vgpr16
                                        ; implicit-def: $vgpr5
                                        ; implicit-def: $vgpr15
                                        ; implicit-def: $vgpr6
                                        ; implicit-def: $vgpr11
                                        ; implicit-def: $vgpr7
                                        ; implicit-def: $vgpr10
                                        ; implicit-def: $vgpr4
	v_cmpx_gt_u32_e32 11, v14
	s_cbranch_execz .LBB0_11
; %bb.10:
	v_mad_co_u64_u32 v[2:3], null, s8, v14, 0
	v_add_nc_u32_e32 v15, 11, v14
	v_lshlrev_b64_e32 v[12:13], 2, v[8:9]
	s_delay_alu instid0(VALU_DEP_3) | instskip(NEXT) | instid1(VALU_DEP_3)
	v_mov_b32_e32 v0, v3
	v_mad_co_u64_u32 v[4:5], null, s8, v15, 0
	v_add_nc_u32_e32 v17, 22, v14
	s_delay_alu instid0(VALU_DEP_4) | instskip(NEXT) | instid1(VALU_DEP_4)
	v_add_co_u32 v42, s0, s10, v12
	v_mad_co_u64_u32 v[6:7], null, s9, v14, v[0:1]
	v_add_nc_u32_e32 v18, 33, v14
	v_mov_b32_e32 v0, v5
	v_mad_co_u64_u32 v[10:11], null, s8, v17, 0
	s_wait_alu 0xf1ff
	v_add_co_ci_u32_e64 v43, s0, s11, v13, s0
	v_mov_b32_e32 v3, v6
	v_mad_co_u64_u32 v[6:7], null, s8, v18, 0
	v_mad_co_u64_u32 v[15:16], null, s9, v15, v[0:1]
	v_mov_b32_e32 v5, v11
	v_add_nc_u32_e32 v19, 44, v14
	v_lshlrev_b64_e32 v[2:3], 2, v[2:3]
	v_mov_b32_e32 v0, v7
	s_delay_alu instid0(VALU_DEP_4) | instskip(SKIP_3) | instid1(VALU_DEP_3)
	v_mad_co_u64_u32 v[11:12], null, s9, v17, v[5:6]
	v_mov_b32_e32 v5, v15
	v_mad_co_u64_u32 v[12:13], null, s8, v19, 0
	v_add_co_u32 v2, s0, v42, v2
	v_lshlrev_b64_e32 v[4:5], 2, v[4:5]
	v_mad_co_u64_u32 v[15:16], null, s9, v18, v[0:1]
	s_wait_alu 0xf1ff
	v_add_co_ci_u32_e64 v3, s0, v43, v3, s0
	v_mov_b32_e32 v0, v13
	s_delay_alu instid0(VALU_DEP_4)
	v_add_co_u32 v16, s0, v42, v4
	s_wait_alu 0xf1ff
	v_add_co_ci_u32_e64 v17, s0, v43, v5, s0
	v_lshlrev_b64_e32 v[4:5], 2, v[10:11]
	v_mad_co_u64_u32 v[18:19], null, s9, v19, v[0:1]
	v_mov_b32_e32 v7, v15
	v_add_nc_u32_e32 v15, 0x42, v14
	s_delay_alu instid0(VALU_DEP_4)
	v_add_co_u32 v19, s0, v42, v4
	s_wait_alu 0xf1ff
	v_add_co_ci_u32_e64 v20, s0, v43, v5, s0
	v_dual_mov_b32 v13, v18 :: v_dual_add_nc_u32 v18, 0x4d, v14
	v_lshlrev_b64_e32 v[4:5], 2, v[6:7]
	v_mad_co_u64_u32 v[6:7], null, s8, v15, 0
	v_add_nc_u32_e32 v21, 55, v14
	s_delay_alu instid0(VALU_DEP_1) | instskip(NEXT) | instid1(VALU_DEP_1)
	v_mad_co_u64_u32 v[10:11], null, s8, v21, 0
	v_mov_b32_e32 v0, v11
	s_delay_alu instid0(VALU_DEP_1)
	v_mad_co_u64_u32 v[21:22], null, s9, v21, v[0:1]
	v_mov_b32_e32 v0, v7
	v_add_co_u32 v22, s0, v42, v4
	s_wait_alu 0xf1ff
	v_add_co_ci_u32_e64 v23, s0, v43, v5, s0
	v_lshlrev_b64_e32 v[4:5], 2, v[12:13]
	v_mad_co_u64_u32 v[12:13], null, s8, v18, 0
	v_mad_co_u64_u32 v[24:25], null, s9, v15, v[0:1]
	v_add_nc_u32_e32 v15, 0x58, v14
	s_delay_alu instid0(VALU_DEP_4)
	v_add_co_u32 v25, s0, v42, v4
	s_wait_alu 0xf1ff
	v_add_co_ci_u32_e64 v26, s0, v43, v5, s0
	v_mov_b32_e32 v0, v13
	v_mad_co_u64_u32 v[27:28], null, s8, v15, 0
	v_mov_b32_e32 v11, v21
	v_add_nc_u32_e32 v21, 0x6e, v14
	s_delay_alu instid0(VALU_DEP_2) | instskip(SKIP_2) | instid1(VALU_DEP_4)
	v_lshlrev_b64_e32 v[4:5], 2, v[10:11]
	v_mad_co_u64_u32 v[10:11], null, s9, v18, v[0:1]
	v_mov_b32_e32 v0, v28
	v_mad_co_u64_u32 v[31:32], null, s8, v21, 0
	v_add_nc_u32_e32 v18, 0x63, v14
	v_add_co_u32 v29, s0, v42, v4
	v_mov_b32_e32 v13, v10
	v_mad_co_u64_u32 v[10:11], null, s9, v15, v[0:1]
	v_mov_b32_e32 v7, v24
	s_wait_alu 0xf1ff
	v_add_co_ci_u32_e64 v30, s0, v43, v5, s0
	s_delay_alu instid0(VALU_DEP_3) | instskip(NEXT) | instid1(VALU_DEP_3)
	v_dual_mov_b32 v28, v10 :: v_dual_add_nc_u32 v15, 0x84, v14
	v_lshlrev_b64_e32 v[4:5], 2, v[6:7]
	v_mad_co_u64_u32 v[6:7], null, s8, v18, 0
	s_delay_alu instid0(VALU_DEP_2) | instskip(SKIP_1) | instid1(VALU_DEP_3)
	v_add_co_u32 v33, s0, v42, v4
	s_wait_alu 0xf1ff
	v_add_co_ci_u32_e64 v34, s0, v43, v5, s0
	s_delay_alu instid0(VALU_DEP_3) | instskip(NEXT) | instid1(VALU_DEP_1)
	v_mov_b32_e32 v0, v7
	v_mad_co_u64_u32 v[10:11], null, s9, v18, v[0:1]
	v_mov_b32_e32 v0, v32
	v_lshlrev_b64_e32 v[4:5], 2, v[12:13]
	s_delay_alu instid0(VALU_DEP_2) | instskip(SKIP_2) | instid1(VALU_DEP_4)
	v_mad_co_u64_u32 v[35:36], null, s9, v21, v[0:1]
	v_add_nc_u32_e32 v13, 0x79, v14
	v_mad_co_u64_u32 v[36:37], null, s8, v15, 0
	v_add_co_u32 v38, s0, v42, v4
	s_wait_alu 0xf1ff
	v_add_co_ci_u32_e64 v39, s0, v43, v5, s0
	v_mov_b32_e32 v32, v35
	v_mad_co_u64_u32 v[11:12], null, s8, v13, 0
	v_lshlrev_b64_e32 v[4:5], 2, v[27:28]
	v_mov_b32_e32 v7, v10
	s_delay_alu instid0(VALU_DEP_4) | instskip(NEXT) | instid1(VALU_DEP_4)
	v_lshlrev_b64_e32 v[31:32], 2, v[31:32]
	v_mov_b32_e32 v0, v12
	s_delay_alu instid0(VALU_DEP_4) | instskip(SKIP_2) | instid1(VALU_DEP_3)
	v_add_co_u32 v27, s0, v42, v4
	s_wait_alu 0xf1ff
	v_add_co_ci_u32_e64 v28, s0, v43, v5, s0
	v_mad_co_u64_u32 v[12:13], null, s9, v13, v[0:1]
	v_mov_b32_e32 v0, v37
	v_lshlrev_b64_e32 v[4:5], 2, v[6:7]
	s_delay_alu instid0(VALU_DEP_2) | instskip(NEXT) | instid1(VALU_DEP_2)
	v_mad_co_u64_u32 v[6:7], null, s9, v15, v[0:1]
	v_add_co_u32 v40, s0, v42, v4
	s_wait_alu 0xf1ff
	s_delay_alu instid0(VALU_DEP_3)
	v_add_co_ci_u32_e64 v41, s0, v43, v5, s0
	v_lshlrev_b64_e32 v[4:5], 2, v[11:12]
	v_add_co_u32 v12, s0, v42, v31
	v_mov_b32_e32 v37, v6
	s_wait_alu 0xf1ff
	v_add_co_ci_u32_e64 v13, s0, v43, v32, s0
	s_delay_alu instid0(VALU_DEP_4) | instskip(NEXT) | instid1(VALU_DEP_3)
	v_add_co_u32 v31, s0, v42, v4
	v_lshlrev_b64_e32 v[6:7], 2, v[36:37]
	s_wait_alu 0xf1ff
	v_add_co_ci_u32_e64 v32, s0, v43, v5, s0
	s_delay_alu instid0(VALU_DEP_2) | instskip(SKIP_1) | instid1(VALU_DEP_3)
	v_add_co_u32 v35, s0, v42, v6
	s_wait_alu 0xf1ff
	v_add_co_ci_u32_e64 v36, s0, v43, v7, s0
	s_clause 0xc
	global_load_b32 v4, v[2:3], off
	global_load_b32 v18, v[16:17], off
	;; [unrolled: 1-line block ×13, first 2 shown]
.LBB0_11:
	s_wait_alu 0xfffe
	s_or_b32 exec_lo, exec_lo, s2
	v_mov_b32_e32 v12, v14
.LBB0_12:
	s_wait_alu 0xfffe
	s_or_b32 exec_lo, exec_lo, s1
	v_lshrrev_b32_e32 v13, 1, v1
	s_mov_b32 s1, exec_lo
	s_delay_alu instid0(VALU_DEP_1) | instskip(NEXT) | instid1(VALU_DEP_1)
	v_mul_hi_u32 v13, 0x92492493, v13
	v_lshrrev_b32_e32 v13, 2, v13
	s_delay_alu instid0(VALU_DEP_1) | instskip(NEXT) | instid1(VALU_DEP_1)
	v_mul_lo_u32 v13, v13, 14
	v_sub_nc_u32_e32 v1, v1, v13
	s_delay_alu instid0(VALU_DEP_1) | instskip(NEXT) | instid1(VALU_DEP_1)
	v_mul_u32_u24_e32 v1, 0x8f, v1
	v_lshlrev_b32_e32 v13, 2, v1
	v_cmpx_gt_u32_e32 11, v14
	s_cbranch_execz .LBB0_14
; %bb.13:
	s_wait_loadcnt 0x0
	v_pk_add_f16 v54, v18, v0 neg_lo:[0,1] neg_hi:[0,1]
	v_pk_add_f16 v53, v18, v0
	v_pk_add_f16 v52, v17, v2
	v_pk_add_f16 v55, v17, v2 neg_lo:[0,1] neg_hi:[0,1]
	v_pk_add_f16 v51, v16, v3
	v_pk_mul_f16 v95, 0xb3a8, v54 op_sel_hi:[0,1]
	v_pk_add_f16 v56, v16, v3 neg_lo:[0,1] neg_hi:[0,1]
	v_lshrrev_b32_e32 v60, 16, v52
	v_mul_f16_e32 v40, 0x3bf1, v55
	v_mul_f16_e32 v22, 0x394e, v55
	;; [unrolled: 1-line block ×5, first 2 shown]
	v_pk_fma_f16 v96, 0xbbc4, v53, v95 op_sel:[0,0,1] op_sel_hi:[0,1,0]
	v_pk_mul_f16 v97, 0x3770, v55 op_sel_hi:[0,1]
	v_pk_add_f16 v47, v15, v5
	v_pk_add_f16 v57, v15, v5 neg_lo:[0,1] neg_hi:[0,1]
	v_pk_add_f16 v31, v11, v6
	v_pk_add_f16 v58, v11, v6 neg_lo:[0,1] neg_hi:[0,1]
	v_lshrrev_b32_e32 v61, 16, v51
	v_mul_f16_e32 v39, 0xba95, v56
	v_fma_f16 v65, v60, 0x2fb7, -v40
	v_mul_f16_e32 v20, 0x3770, v56
	v_fma_f16 v73, v60, 0xb9fd, -v22
	v_fma_f16 v79, v60, 0xbbc4, -v30
	v_mul_f16_e32 v32, 0x3b7b, v56
	v_mul_f16_e32 v33, 0xb3a8, v56
	v_fma_f16 v85, v60, 0xb5ac, -v37
	v_mul_f16_e32 v46, 0xbbf1, v56
	v_fma_f16 v91, v60, 0x388b, -v48
	v_fmac_f16_e32 v40, 0x2fb7, v60
	v_fmac_f16_e32 v22, 0xb9fd, v60
	v_fmac_f16_e32 v30, 0xbbc4, v60
	v_fmac_f16_e32 v37, 0xb5ac, v60
	v_fmac_f16_e32 v48, 0x388b, v60
	v_pk_add_f16 v60, v96, v4
	v_pk_fma_f16 v96, 0x3b15, v52, v97 op_sel:[0,0,1] op_sel_hi:[0,1,0]
	v_pk_mul_f16 v98, 0xb94e, v56 op_sel_hi:[0,1]
	v_pk_add_f16 v23, v10, v7
	v_lshrrev_b32_e32 v59, 16, v53
	v_mul_f16_e32 v41, 0xb94e, v54
	v_lshrrev_b32_e32 v62, 16, v47
	v_mul_f16_e32 v34, 0x33a8, v57
	v_pk_add_f16 v63, v10, v7 neg_lo:[0,1] neg_hi:[0,1]
	v_fma_f16 v66, v61, 0x388b, -v39
	v_lshrrev_b32_e32 v68, 16, v31
	v_mul_f16_e32 v38, 0x3770, v58
	v_fma_f16 v74, v61, 0x3b15, -v20
	v_mul_f16_e32 v21, 0xbbf1, v57
	v_mul_f16_e32 v19, 0x33a8, v58
	;; [unrolled: 1-line block ×4, first 2 shown]
	v_fma_f16 v80, v61, 0xb5ac, -v32
	v_mul_f16_e32 v29, 0x394e, v57
	v_mul_f16_e32 v27, 0x3bf1, v58
	v_fma_f16 v86, v61, 0xbbc4, -v33
	v_mul_f16_e32 v45, 0xbb7b, v57
	v_mul_f16_e32 v43, 0xb94e, v58
	v_fma_f16 v92, v61, 0x2fb7, -v46
	v_fmac_f16_e32 v39, 0x388b, v61
	v_fmac_f16_e32 v20, 0x3b15, v61
	;; [unrolled: 1-line block ×5, first 2 shown]
	v_pk_add_f16 v60, v96, v60
	v_pk_fma_f16 v61, 0xb9fd, v51, v98 op_sel:[0,0,1] op_sel_hi:[0,1,0]
	v_pk_mul_f16 v96, 0x3a95, v57 op_sel_hi:[0,1]
	v_fma_f16 v64, v59, 0xb9fd, -v41
	v_fma_f16 v67, v62, 0xbbc4, -v34
	v_lshrrev_b32_e32 v69, 16, v23
	v_mul_f16_e32 v35, 0xbb7b, v63
	v_mul_f16_e32 v42, 0xbb7b, v54
	v_fma_f16 v70, v68, 0x3b15, -v38
	v_mul_f16_e32 v1, 0x3a95, v63
	v_mul_f16_e32 v50, 0xbbf1, v54
	v_fma_f16 v75, v62, 0x2fb7, -v21
	v_fma_f16 v76, v68, 0xbbc4, -v19
	v_mul_f16_e32 v24, 0xb94e, v63
	v_mul_f16_e32 v36, 0xba95, v54
	v_fma_f16 v81, v62, 0x3b15, -v28
	v_fma_f16 v82, v68, 0x388b, -v26
	v_mul_f16_e32 v25, 0x3770, v63
	v_fma_f16 v87, v62, 0xb9fd, -v29
	v_fma_f16 v88, v68, 0x2fb7, -v27
	;; [unrolled: 3-line block ×3, first 2 shown]
	v_mul_f16_e32 v44, 0xb3a8, v63
	v_fmac_f16_e32 v34, 0xbbc4, v62
	v_fmac_f16_e32 v38, 0x3b15, v68
	;; [unrolled: 1-line block ×10, first 2 shown]
	v_pk_add_f16 v60, v61, v60
	v_pk_fma_f16 v61, 0x388b, v47, v96 op_sel:[0,0,1] op_sel_hi:[0,1,0]
	v_lshrrev_b32_e32 v62, 16, v4
	v_pk_mul_f16 v68, 0xbb7b, v58 op_sel_hi:[0,1]
	v_lshrrev_b32_e32 v54, 16, v54
	v_fma_f16 v71, v69, 0xb5ac, -v35
	v_fma_f16 v72, v59, 0xb5ac, -v42
	;; [unrolled: 1-line block ×8, first 2 shown]
	v_fmac_f16_e32 v41, 0xb9fd, v59
	v_fmac_f16_e32 v42, 0xb5ac, v59
	;; [unrolled: 1-line block ×5, first 2 shown]
	v_fma_f16 v59, v69, 0xbbc4, -v44
	v_fmac_f16_e32 v35, 0xb5ac, v69
	v_fmac_f16_e32 v1, 0x388b, v69
	;; [unrolled: 1-line block ×5, first 2 shown]
	v_pk_add_f16 v60, v61, v60
	v_add_f16_e32 v61, v64, v62
	v_pk_fma_f16 v64, 0xb5ac, v31, v68 op_sel:[0,0,1] op_sel_hi:[0,1,0]
	v_mul_f16_e32 v69, 0xb94e, v54
	v_lshrrev_b32_e32 v55, 16, v55
	v_pk_mul_f16 v99, 0x3bf1, v63 op_sel_hi:[0,1]
	v_add_f16_e32 v61, v65, v61
	v_pk_add_f16 v60, v64, v60
	v_fmamk_f16 v64, v53, 0xb9fd, v69
	v_mul_f16_e32 v65, 0x3bf1, v55
	v_pk_fma_f16 v100, 0x2fb7, v23, v99 op_sel:[0,0,1] op_sel_hi:[0,1,0]
	v_lshrrev_b32_e32 v56, 16, v56
	v_add_f16_e32 v61, v66, v61
	v_add_f16_e32 v64, v64, v4
	v_fmamk_f16 v66, v52, 0x2fb7, v65
	v_pk_add_f16 v60, v100, v60
	v_mul_f16_e32 v100, 0xba95, v56
	v_lshrrev_b32_e32 v57, 16, v57
	v_add_f16_e32 v61, v67, v61
	v_add_f16_e32 v64, v66, v64
	;; [unrolled: 1-line block ×3, first 2 shown]
	v_fmamk_f16 v67, v51, 0x388b, v100
	v_mul_f16_e32 v72, 0x33a8, v57
	v_lshrrev_b32_e32 v58, 16, v58
	v_add_f16_e32 v61, v70, v61
	v_add_f16_e32 v66, v73, v66
	;; [unrolled: 1-line block ×3, first 2 shown]
	v_fmamk_f16 v67, v47, 0xbbc4, v72
	v_mul_f16_e32 v70, 0x3770, v58
	v_lshrrev_b32_e32 v63, 16, v63
	v_mul_f16_e32 v73, 0xbb7b, v54
	v_add_f16_e32 v66, v74, v66
	v_add_f16_e32 v64, v67, v64
	v_fmamk_f16 v67, v31, 0x3b15, v70
	v_mul_f16_e32 v74, 0xbb7b, v63
	v_fmamk_f16 v101, v53, 0xb5ac, v73
	v_mul_f16_e32 v102, 0x394e, v55
	v_add_f16_e32 v66, v75, v66
	v_add_f16_e32 v64, v67, v64
	v_fmamk_f16 v67, v23, 0xb5ac, v74
	v_add_f16_e32 v75, v101, v4
	v_fmamk_f16 v101, v52, 0xb9fd, v102
	v_add_f16_e32 v61, v71, v61
	v_mul_f16_e32 v71, 0x3770, v56
	v_add_f16_e32 v66, v76, v66
	v_add_f16_e32 v64, v67, v64
	;; [unrolled: 1-line block ×4, first 2 shown]
	v_fmamk_f16 v76, v51, 0x3b15, v71
	v_mul_f16_e32 v78, 0xbbf1, v57
	v_add_f16_e32 v66, v77, v66
	v_mul_f16_e32 v77, 0xbbf1, v54
	v_add_f16_e32 v75, v79, v75
	v_add_f16_e32 v67, v76, v67
	v_fmamk_f16 v76, v47, 0x2fb7, v78
	v_mul_f16_e32 v79, 0x33a8, v58
	v_fmamk_f16 v101, v53, 0x2fb7, v77
	v_mul_f16_e32 v103, 0xb3a8, v55
	v_add_f16_e32 v75, v80, v75
	v_add_f16_e32 v67, v76, v67
	v_fmamk_f16 v76, v31, 0xbbc4, v79
	v_add_f16_e32 v80, v101, v4
	v_fmamk_f16 v101, v52, 0xbbc4, v103
	v_add_f16_e32 v75, v81, v75
	v_mul_f16_e32 v81, 0x3b7b, v56
	v_add_f16_e32 v67, v76, v67
	v_mul_f16_e32 v76, 0x3a95, v63
	v_add_f16_e32 v80, v101, v80
	v_add_f16_e32 v84, v84, v62
	v_fmamk_f16 v101, v51, 0xb5ac, v81
	v_mul_f16_e32 v104, 0x3770, v57
	v_add_f16_e32 v75, v82, v75
	v_fmamk_f16 v82, v23, 0x388b, v76
	v_add_f16_e32 v84, v85, v84
	v_add_f16_e32 v80, v101, v80
	v_fmamk_f16 v85, v47, 0x3b15, v104
	v_mul_f16_e32 v101, 0xba95, v58
	v_mul_f16_e32 v105, 0xba95, v54
	v_add_f16_e32 v67, v82, v67
	v_add_f16_e32 v82, v86, v84
	;; [unrolled: 1-line block ×3, first 2 shown]
	v_fmamk_f16 v84, v31, 0x388b, v101
	v_fmamk_f16 v85, v53, 0x388b, v105
	v_mul_f16_e32 v86, 0xbb7b, v55
	v_add_f16_e32 v75, v83, v75
	v_add_f16_e32 v82, v87, v82
	;; [unrolled: 1-line block ×4, first 2 shown]
	v_fmamk_f16 v84, v52, 0xb5ac, v86
	v_mul_f16_e32 v85, 0xb3a8, v56
	v_add_f16_e32 v82, v88, v82
	v_mul_f16_e32 v88, 0x394e, v57
	v_add_f16_e32 v90, v90, v62
	v_add_f16_e32 v83, v84, v83
	v_fmamk_f16 v84, v51, 0xbbc4, v85
	v_mul_f16_e32 v54, 0xb770, v54
	v_mul_f16_e32 v55, 0xba95, v55
	v_fma_f16 v69, v53, 0xb9fd, -v69
	v_fma_f16 v73, v53, 0xb5ac, -v73
	v_add_f16_e32 v83, v84, v83
	v_fmamk_f16 v84, v47, 0xb9fd, v88
	v_fmamk_f16 v107, v53, 0x3b15, v54
	v_fma_f16 v77, v53, 0x2fb7, -v77
	v_fmamk_f16 v108, v52, 0x388b, v55
	v_fma_f16 v86, v52, 0xb5ac, -v86
	v_add_f16_e32 v83, v84, v83
	v_add_f16_e32 v84, v91, v90
	v_pk_fma_f16 v90, 0xbbc4, v53, v95 op_sel:[0,0,1] op_sel_hi:[0,1,0] neg_lo:[0,0,1] neg_hi:[0,0,1]
	v_fma_f16 v91, v53, 0x388b, -v105
	v_fma_f16 v53, v53, 0x3b15, -v54
	;; [unrolled: 1-line block ×3, first 2 shown]
	v_pk_fma_f16 v65, 0x3b15, v52, v97 op_sel:[0,0,1] op_sel_hi:[0,1,0] neg_lo:[0,0,1] neg_hi:[0,0,1]
	v_pk_add_f16 v90, v90, v4
	v_add_f16_e32 v107, v107, v4
	v_fma_f16 v95, v52, 0xb9fd, -v102
	v_fma_f16 v97, v52, 0xbbc4, -v103
	;; [unrolled: 1-line block ×3, first 2 shown]
	v_pk_add_f16 v55, v65, v90
	v_mul_f16_e32 v65, 0x3bf1, v58
	v_mul_f16_e32 v56, 0xbbf1, v56
	v_add_f16_e32 v41, v41, v62
	v_add_f16_e32 v69, v69, v4
	v_add_f16_e32 v82, v89, v82
	v_add_f16_e32 v89, v108, v107
	v_fma_f16 v90, v51, 0x388b, -v100
	v_fmamk_f16 v100, v31, 0x2fb7, v65
	v_fmamk_f16 v102, v51, 0x2fb7, v56
	v_pk_fma_f16 v98, 0xb9fd, v51, v98 op_sel:[0,0,1] op_sel_hi:[0,1,0] neg_lo:[0,0,1] neg_hi:[0,0,1]
	v_mul_f16_e32 v57, 0xbb7b, v57
	v_add_f16_e32 v40, v40, v41
	v_add_f16_e32 v54, v54, v69
	v_fma_f16 v71, v51, 0x3b15, -v71
	v_fma_f16 v81, v51, 0xb5ac, -v81
	v_fma_f16 v85, v51, 0xbbc4, -v85
	v_fma_f16 v51, v51, 0x2fb7, -v56
	v_add_f16_e32 v56, v100, v83
	v_add_f16_e32 v83, v92, v84
	;; [unrolled: 1-line block ×3, first 2 shown]
	v_pk_add_f16 v55, v98, v55
	v_fma_f16 v72, v47, 0xbbc4, -v72
	v_fmamk_f16 v100, v47, 0xb5ac, v57
	v_pk_fma_f16 v96, 0x388b, v47, v96 op_sel:[0,0,1] op_sel_hi:[0,1,0] neg_lo:[0,0,1] neg_hi:[0,0,1]
	v_mul_f16_e32 v58, 0xb94e, v58
	v_add_f16_e32 v39, v39, v40
	v_add_f16_e32 v54, v90, v54
	v_mul_f16_e32 v87, 0xb94e, v63
	v_mul_f16_e32 v89, 0x3770, v63
	v_fma_f16 v78, v47, 0x2fb7, -v78
	v_fma_f16 v92, v47, 0x3b15, -v104
	;; [unrolled: 1-line block ×4, first 2 shown]
	v_add_f16_e32 v57, v93, v83
	v_add_f16_e32 v83, v100, v84
	v_pk_add_f16 v55, v96, v55
	v_fma_f16 v70, v31, 0x3b15, -v70
	v_fma_f16 v79, v31, 0xbbc4, -v79
	;; [unrolled: 1-line block ×4, first 2 shown]
	v_fmamk_f16 v93, v31, 0xb9fd, v58
	v_mul_f16_e32 v41, 0xb3a8, v63
	v_fma_f16 v58, v31, 0xb9fd, -v58
	v_pk_fma_f16 v31, 0xb5ac, v31, v68 op_sel:[0,0,1] op_sel_hi:[0,1,0] neg_lo:[0,0,1] neg_hi:[0,0,1]
	v_add_f16_e32 v34, v34, v39
	v_add_f16_e32 v39, v72, v54
	v_pk_add_f16 v18, v18, v4
	v_fmamk_f16 v106, v23, 0xb9fd, v87
	v_fmamk_f16 v98, v23, 0x3b15, v89
	;; [unrolled: 1-line block ×3, first 2 shown]
	v_fma_f16 v63, v23, 0xb5ac, -v74
	v_fma_f16 v69, v23, 0x388b, -v76
	;; [unrolled: 1-line block ×5, first 2 shown]
	v_pk_add_f16 v31, v31, v55
	v_pk_fma_f16 v23, 0x2fb7, v23, v99 op_sel:[0,0,1] op_sel_hi:[0,1,0] neg_lo:[0,0,1] neg_hi:[0,0,1]
	v_add_f16_e32 v34, v38, v34
	v_add_f16_e32 v38, v70, v39
	v_pk_add_f16 v17, v17, v18
	v_add_f16_e32 v57, v94, v57
	v_pk_add_f16 v23, v23, v31
	v_add_f16_e32 v31, v35, v34
	v_add_f16_e32 v34, v63, v38
	;; [unrolled: 1-line block ×6, first 2 shown]
	v_pk_add_f16 v16, v16, v17
	v_add_f16_e32 v22, v22, v35
	v_add_f16_e32 v35, v95, v38
	v_add_f16_e32 v30, v30, v42
	v_add_f16_e32 v38, v97, v50
	v_pk_add_f16 v15, v15, v16
	v_add_f16_e32 v18, v20, v22
	v_add_f16_e32 v20, v71, v35
	v_add_f16_e32 v22, v32, v30
	v_add_f16_e32 v30, v81, v38
	;; [unrolled: 5-line block ×5, first 2 shown]
	v_add_f16_e32 v15, v69, v17
	v_add_f16_e32 v17, v74, v19
	v_add_f16_e32 v19, v49, v62
	v_add_f16_e32 v4, v53, v4
	v_pk_add_f16 v6, v6, v7
	v_add_f16_e32 v10, v37, v11
	v_add_f16_e32 v11, v86, v18
	v_add_f16_e32 v18, v48, v19
	v_add_f16_e32 v4, v52, v4
	v_pk_add_f16 v5, v5, v6
	;; [unrolled: 5-line block ×3, first 2 shown]
	v_add_f16_e32 v6, v29, v7
	v_add_f16_e32 v7, v88, v10
	;; [unrolled: 1-line block ×5, first 2 shown]
	v_mul_u32_u24_e32 v68, 52, v14
	v_pk_add_f16 v2, v2, v3
	v_add_f16_e32 v5, v27, v6
	v_add_f16_e32 v6, v65, v7
	v_add_f16_e32 v56, v98, v56
	v_add_f16_e32 v39, v59, v57
	v_add_f16_e32 v40, v40, v54
	v_add_f16_e32 v7, v43, v10
	v_add_f16_e32 v4, v58, v4
	v_add_f16_e32 v80, v106, v80
	v_add3_u32 v68, 0, v68, v13
	v_pk_add_f16 v0, v0, v2
	v_pack_b32_f16 v2, v64, v61
	v_add_f16_e32 v3, v25, v5
	v_add_f16_e32 v5, v76, v6
	;; [unrolled: 1-line block ×4, first 2 shown]
	v_pack_b32_f16 v7, v56, v82
	v_pack_b32_f16 v10, v40, v39
	;; [unrolled: 1-line block ×4, first 2 shown]
	ds_store_2addr_b32 v68, v0, v2 offset1:5
	v_bfi_b32 v0, 0xffff, v23, v60
	v_bfi_b32 v2, 0xffff, v60, v23
	v_pack_b32_f16 v1, v15, v1
	v_pack_b32_f16 v15, v34, v31
	;; [unrolled: 1-line block ×5, first 2 shown]
	ds_store_2addr_b32 v68, v10, v7 offset0:1 offset1:2
	ds_store_2addr_b32 v68, v18, v11 offset0:3 offset1:4
	;; [unrolled: 1-line block ×5, first 2 shown]
	ds_store_b32 v68, v4 offset:48
.LBB0_14:
	s_wait_alu 0xfffe
	s_or_b32 exec_lo, exec_lo, s1
	global_wb scope:SCOPE_SE
	s_wait_loadcnt_dscnt 0x0
	s_barrier_signal -1
	s_barrier_wait -1
	global_inv scope:SCOPE_SE
	s_and_saveexec_b32 s0, vcc_lo
	s_cbranch_execz .LBB0_16
; %bb.15:
	v_add_nc_u32_e32 v34, 26, v12
	v_mad_co_u64_u32 v[15:16], null, s8, v12, 0
	v_mul_u32_u24_e32 v0, 10, v14
	v_lshlrev_b32_e32 v14, 2, v14
	s_delay_alu instid0(VALU_DEP_4) | instskip(SKIP_2) | instid1(VALU_DEP_4)
	v_mad_co_u64_u32 v[17:18], null, s8, v34, 0
	v_add_nc_u32_e32 v32, 13, v12
	v_lshlrev_b64_e32 v[8:9], 2, v[8:9]
	v_add3_u32 v30, 0, v14, v13
	v_add3_u32 v23, 0, v13, v14
	v_add_nc_u32_e32 v36, 52, v12
	v_mad_co_u64_u32 v[13:14], null, s8, v32, 0
	v_mad_co_u64_u32 v[25:26], null, s9, v12, v[16:17]
	v_add_nc_u32_e32 v35, 39, v12
	s_delay_alu instid0(VALU_DEP_3) | instskip(NEXT) | instid1(VALU_DEP_3)
	v_mad_co_u64_u32 v[32:33], null, s9, v32, v[14:15]
	v_mov_b32_e32 v16, v25
	s_delay_alu instid0(VALU_DEP_3) | instskip(SKIP_4) | instid1(VALU_DEP_4)
	v_mad_co_u64_u32 v[28:29], null, s8, v35, 0
	v_lshlrev_b32_e32 v4, 2, v0
	v_add_co_u32 v25, vcc_lo, s10, v8
	s_wait_alu 0xfffd
	v_add_co_ci_u32_e32 v33, vcc_lo, s11, v9, vcc_lo
	v_dual_mov_b32 v8, v18 :: v_dual_mov_b32 v9, v29
	s_clause 0x2
	global_load_b128 v[0:3], v4, s[4:5]
	global_load_b64 v[10:11], v4, s[4:5] offset:32
	global_load_b128 v[4:7], v4, s[4:5] offset:16
	ds_load_2addr_b32 v[19:20], v30 offset0:13 offset1:26
	ds_load_2addr_b32 v[21:22], v30 offset0:117 offset1:130
	ds_load_b32 v37, v23
	ds_load_2addr_b32 v[23:24], v30 offset0:39 offset1:52
	ds_load_2addr_b32 v[26:27], v30 offset0:91 offset1:104
	;; [unrolled: 1-line block ×3, first 2 shown]
	v_mov_b32_e32 v14, v32
	v_lshlrev_b64_e32 v[15:16], 2, v[15:16]
	s_delay_alu instid0(VALU_DEP_2) | instskip(NEXT) | instid1(VALU_DEP_2)
	v_lshlrev_b64_e32 v[13:14], 2, v[13:14]
	v_add_co_u32 v15, vcc_lo, v25, v15
	s_wait_alu 0xfffd
	s_delay_alu instid0(VALU_DEP_3)
	v_add_co_ci_u32_e32 v16, vcc_lo, v33, v16, vcc_lo
	s_wait_dscnt 0x5
	v_lshrrev_b32_e32 v18, 16, v19
	s_wait_dscnt 0x4
	v_lshrrev_b32_e32 v29, 16, v22
	v_lshrrev_b32_e32 v38, 16, v20
	;; [unrolled: 1-line block ×3, first 2 shown]
	s_wait_dscnt 0x1
	v_lshrrev_b32_e32 v43, 16, v26
	s_wait_dscnt 0x0
	v_lshrrev_b32_e32 v45, 16, v31
	v_lshrrev_b32_e32 v32, 16, v37
	;; [unrolled: 1-line block ×6, first 2 shown]
	s_wait_loadcnt 0x2
	v_lshrrev_b32_e32 v46, 16, v0
	s_wait_loadcnt 0x1
	v_lshrrev_b32_e32 v51, 16, v11
	v_lshrrev_b32_e32 v47, 16, v1
	;; [unrolled: 1-line block ×3, first 2 shown]
	s_wait_loadcnt 0x0
	v_lshrrev_b32_e32 v53, 16, v5
	v_lshrrev_b32_e32 v54, 16, v6
	v_mul_f16_e32 v56, v46, v18
	v_mul_f16_e32 v57, v51, v29
	;; [unrolled: 1-line block ×4, first 2 shown]
	v_lshrrev_b32_e32 v48, 16, v2
	v_mul_f16_e32 v58, v47, v38
	v_mul_f16_e32 v59, v50, v39
	;; [unrolled: 1-line block ×7, first 2 shown]
	v_fmac_f16_e32 v56, v0, v19
	v_fmac_f16_e32 v57, v11, v22
	v_fma_f16 v11, v11, v29, -v51
	v_fma_f16 v0, v0, v18, -v46
	v_lshrrev_b32_e32 v49, 16, v3
	v_mul_f16_e32 v60, v48, v40
	v_mul_f16_e32 v48, v48, v23
	;; [unrolled: 1-line block ×3, first 2 shown]
	v_fmac_f16_e32 v58, v1, v20
	v_fmac_f16_e32 v59, v10, v21
	v_fma_f16 v10, v10, v39, -v50
	v_fma_f16 v1, v1, v38, -v47
	v_fmac_f16_e32 v63, v6, v26
	v_fma_f16 v6, v6, v43, -v54
	v_fmac_f16_e32 v65, v5, v31
	v_add_f16_e32 v19, v0, v11
	v_sub_f16_e32 v31, v0, v11
	v_add_f16_e32 v0, v0, v32
	v_add_f16_e32 v43, v56, v37
	v_lshrrev_b32_e32 v52, 16, v4
	v_mul_f16_e32 v62, v49, v42
	v_mul_f16_e32 v49, v49, v24
	v_fmac_f16_e32 v60, v2, v23
	v_fma_f16 v2, v2, v40, -v48
	v_add_f16_e32 v21, v1, v10
	v_sub_f16_e32 v39, v1, v10
	v_add_f16_e32 v0, v0, v1
	v_add_f16_e32 v1, v43, v58
	v_mul_f16_e32 v64, v52, v44
	v_mul_f16_e32 v52, v52, v30
	v_fmac_f16_e32 v62, v3, v24
	v_fma_f16 v3, v3, v42, -v49
	v_add_f16_e32 v0, v0, v2
	v_add_f16_e32 v1, v1, v60
	v_lshrrev_b32_e32 v55, 16, v7
	v_fmac_f16_e32 v64, v4, v30
	v_fma_f16 v4, v4, v44, -v52
	v_add_f16_e32 v0, v0, v3
	v_add_f16_e32 v1, v1, v62
	v_mul_f16_e32 v61, v55, v41
	v_mul_f16_e32 v55, v27, v55
	v_fma_f16 v5, v5, v45, -v53
	v_add_f16_e32 v0, v0, v4
	v_add_f16_e32 v1, v1, v64
	v_fmac_f16_e32 v61, v7, v27
	v_fma_f16 v7, v7, v41, -v55
	v_sub_f16_e32 v18, v56, v57
	v_add_f16_e32 v0, v0, v5
	v_add_f16_e32 v1, v1, v65
	v_sub_f16_e32 v20, v58, v59
	v_sub_f16_e32 v22, v60, v61
	v_add_f16_e32 v23, v2, v7
	v_sub_f16_e32 v24, v62, v63
	v_add_f16_e32 v26, v3, v6
	;; [unrolled: 2-line block ×3, first 2 shown]
	v_add_f16_e32 v30, v56, v57
	v_sub_f16_e32 v41, v2, v7
	v_sub_f16_e32 v42, v3, v6
	;; [unrolled: 1-line block ×3, first 2 shown]
	v_mul_f16_e32 v47, 0xb482, v18
	v_mul_f16_e32 v52, 0xb482, v31
	;; [unrolled: 1-line block ×6, first 2 shown]
	v_add_f16_e32 v0, v6, v0
	v_add_f16_e32 v1, v63, v1
	;; [unrolled: 1-line block ×6, first 2 shown]
	v_mul_f16_e32 v48, 0x3853, v20
	v_mul_f16_e32 v49, 0xba0c, v22
	;; [unrolled: 1-line block ×44, first 2 shown]
	v_fmamk_f16 v99, v19, 0xbbad, v47
	v_fma_f16 v104, v30, 0xbbad, -v52
	v_fma_f16 v19, v19, 0xbbad, -v47
	v_fmamk_f16 v47, v18, 0x3a0c, v55
	v_fmamk_f16 v110, v18, 0x3beb, v72
	;; [unrolled: 1-line block ×4, first 2 shown]
	v_fmac_f16_e32 v55, 0xba0c, v18
	v_fmac_f16_e32 v72, 0xbbeb, v18
	;; [unrolled: 1-line block ×4, first 2 shown]
	v_add_f16_e32 v0, v7, v0
	v_add_f16_e32 v1, v61, v1
	v_fmamk_f16 v100, v21, 0x3abb, v48
	v_fmamk_f16 v101, v23, 0xb93d, v49
	;; [unrolled: 1-line block ×4, first 2 shown]
	v_fma_f16 v105, v38, 0x3abb, -v53
	v_fma_f16 v106, v40, 0xb93d, -v54
	;; [unrolled: 1-line block ×6, first 2 shown]
	v_fmac_f16_e32 v52, 0xbbad, v30
	v_fmac_f16_e32 v53, 0x3abb, v38
	v_fmac_f16_e32 v54, 0xb93d, v40
	v_fmamk_f16 v48, v20, 0xbbeb, v56
	v_fmamk_f16 v49, v22, 0x3853, v66
	;; [unrolled: 1-line block ×22, first 2 shown]
	v_fmac_f16_e32 v56, 0x3beb, v20
	v_fmac_f16_e32 v73, 0x3482, v20
	v_fmac_f16_e32 v81, 0xba0c, v20
	v_fmac_f16_e32 v89, 0xbb47, v20
	v_fmamk_f16 v20, v22, 0x3beb, v90
	v_fmac_f16_e32 v66, 0xb853, v22
	v_fmac_f16_e32 v74, 0x3b47, v22
	v_fmac_f16_e32 v82, 0x3482, v22
	v_fmac_f16_e32 v90, 0xbbeb, v22
	v_fmamk_f16 v22, v24, 0x3a0c, v91
	;; [unrolled: 5-line block ×4, first 2 shown]
	v_fma_f16 v69, v30, 0xb93d, -v69
	v_fma_f16 v77, v30, 0xb08e, -v77
	;; [unrolled: 1-line block ×4, first 2 shown]
	v_fmamk_f16 v31, v38, 0x36a6, v39
	v_fma_f16 v70, v38, 0xb08e, -v70
	v_fma_f16 v78, v38, 0xbbad, -v78
	;; [unrolled: 1-line block ×4, first 2 shown]
	v_fmamk_f16 v39, v40, 0xb08e, v41
	v_fma_f16 v71, v40, 0x3abb, -v71
	v_fma_f16 v79, v40, 0x36a6, -v79
	;; [unrolled: 1-line block ×5, first 2 shown]
	v_fmac_f16_e32 v43, 0x36a6, v44
	v_fmamk_f16 v127, v44, 0xbbad, v58
	v_fma_f16 v58, v44, 0xbbad, -v58
	v_fma_f16 v128, 0x3abb, v44, v93
	v_fma_f16 v93, v44, 0x3abb, -v93
	v_fma_f16 v129, 0xb08e, v44, v94
	v_fma_f16 v94, v44, 0xb08e, -v94
	v_fma_f16 v130, 0xb93d, v44, v42
	v_fma_f16 v42, v44, 0xb93d, -v42
	v_fma_f16 v44, v46, 0xb08e, -v95
	v_fmac_f16_e32 v95, 0xb08e, v46
	v_fma_f16 v131, 0x36a6, v46, v96
	v_fma_f16 v96, v46, 0x36a6, -v96
	v_fma_f16 v132, 0xb93d, v46, v97
	v_fma_f16 v97, v46, 0xb93d, -v97
	;; [unrolled: 2-line block ×4, first 2 shown]
	v_add_f16_e32 v2, v99, v32
	v_add_f16_e32 v19, v19, v32
	;; [unrolled: 1-line block ×28, first 2 shown]
	v_lshlrev_b32_e32 v0, 16, v0
	v_and_b32_e32 v1, 0xffff, v1
	v_add_f16_e32 v19, v21, v54
	v_add_f16_e32 v30, v30, v40
	;; [unrolled: 1-line block ×8, first 2 shown]
	v_or_b32_e32 v10, v0, v1
	v_add_f16_e32 v5, v19, v43
	v_add_f16_e32 v30, v30, v42
	v_add_f16_e32 v42, v2, v103
	v_add_f16_e32 v43, v3, v44
	v_mad_co_u64_u32 v[2:3], null, s9, v34, v[8:9]
	v_add_f16_e32 v107, v115, v37
	v_add_f16_e32 v110, v123, v37
	v_add_f16_e32 v69, v69, v37
	v_add_f16_e32 v77, v77, v37
	v_add_f16_e32 v85, v85, v37
	v_add_f16_e32 v37, v46, v48
	v_add_f16_e32 v46, v104, v108
	v_add_f16_e32 v47, v47, v111
	v_add_f16_e32 v52, v60, v119
	v_add_f16_e32 v18, v18, v22
	v_add_f16_e64 v20, v20, v130
	v_add_f16_e32 v44, v4, v29
	v_mad_co_u64_u32 v[0:1], null, s8, v36, 0
	v_mad_co_u64_u32 v[3:4], null, s9, v35, v[9:10]
	v_add_f16_e32 v21, v37, v49
	v_add_f16_e32 v23, v46, v109
	;; [unrolled: 1-line block ×5, first 2 shown]
	v_add_f16_e64 v7, v20, v134
	v_add_f16_e32 v48, v107, v116
	v_add_f16_e32 v53, v110, v124
	v_mov_b32_e32 v18, v2
	v_add_co_u32 v4, vcc_lo, v25, v13
	v_add_f16_e32 v19, v21, v50
	v_add_f16_e32 v21, v23, v127
	;; [unrolled: 1-line block ×5, first 2 shown]
	s_wait_alu 0xfffd
	v_add_co_ci_u32_e32 v5, vcc_lo, v33, v14, vcc_lo
	v_pack_b32_f16 v6, v7, v6
	v_mov_b32_e32 v29, v3
	v_mad_co_u64_u32 v[1:2], null, s9, v36, v[1:2]
	v_add_f16_e32 v38, v48, v117
	v_add_f16_e32 v47, v53, v125
	global_store_b32 v[15:16], v10, off
	v_add_nc_u32_e32 v15, 0x75, v12
	v_lshlrev_b64_e32 v[2:3], 2, v[17:18]
	v_add_nc_u32_e32 v8, 0x41, v12
	global_store_b32 v[4:5], v6, off
	v_lshlrev_b64_e32 v[4:5], 2, v[28:29]
	v_add_f16_e64 v26, v38, v128
	v_add_f16_e64 v38, v47, v129
	v_mad_co_u64_u32 v[6:7], null, s8, v8, 0
	v_add_co_u32 v2, vcc_lo, v25, v2
	v_lshlrev_b64_e32 v[0:1], 2, v[0:1]
	s_wait_alu 0xfffd
	v_add_co_ci_u32_e32 v3, vcc_lo, v33, v3, vcc_lo
	v_add_f16_e32 v19, v19, v51
	v_add_f16_e64 v21, v21, v131
	v_add_f16_e32 v37, v37, v122
	v_add_f16_e64 v38, v38, v133
	v_add_co_u32 v4, vcc_lo, v25, v4
	v_add_f16_e32 v23, v23, v114
	v_add_f16_e64 v26, v26, v132
	s_wait_alu 0xfffd
	v_add_co_ci_u32_e32 v5, vcc_lo, v33, v5, vcc_lo
	v_add_co_u32 v0, vcc_lo, v25, v0
	v_pack_b32_f16 v9, v38, v37
	v_mad_co_u64_u32 v[7:8], null, s9, v8, v[7:8]
	s_wait_alu 0xfffd
	v_add_co_ci_u32_e32 v1, vcc_lo, v33, v1, vcc_lo
	v_pack_b32_f16 v10, v21, v19
	v_pack_b32_f16 v8, v26, v23
	s_clause 0x1
	global_store_b32 v[2:3], v9, off
	global_store_b32 v[4:5], v8, off
	v_add_nc_u32_e32 v8, 0x4e, v12
	global_store_b32 v[0:1], v10, off
	v_add_nc_u32_e32 v10, 0x5b, v12
	v_add_nc_u32_e32 v13, 0x68, v12
	v_lshlrev_b64_e32 v[0:1], 2, v[6:7]
	v_mad_co_u64_u32 v[2:3], null, s8, v8, 0
	s_delay_alu instid0(VALU_DEP_4) | instskip(NEXT) | instid1(VALU_DEP_4)
	v_mad_co_u64_u32 v[4:5], null, s8, v10, 0
	v_mad_co_u64_u32 v[6:7], null, s8, v13, 0
	s_delay_alu instid0(VALU_DEP_4)
	v_add_co_u32 v0, vcc_lo, v25, v0
	v_add_nc_u32_e32 v12, 0x82, v12
	s_wait_alu 0xfffd
	v_add_co_ci_u32_e32 v1, vcc_lo, v33, v1, vcc_lo
	v_mad_co_u64_u32 v[8:9], null, s9, v8, v[3:4]
	v_mad_co_u64_u32 v[9:10], null, s9, v10, v[5:6]
	v_mov_b32_e32 v5, v7
	v_mad_co_u64_u32 v[10:11], null, s8, v15, 0
	v_pack_b32_f16 v14, v46, v44
	v_mov_b32_e32 v3, v8
	s_delay_alu instid0(VALU_DEP_4)
	v_mad_co_u64_u32 v[7:8], null, s9, v13, v[5:6]
	v_mov_b32_e32 v5, v9
	v_mad_co_u64_u32 v[8:9], null, s8, v12, 0
	global_store_b32 v[0:1], v14, off
	v_lshlrev_b64_e32 v[0:1], 2, v[2:3]
	v_mov_b32_e32 v2, v11
	v_lshlrev_b64_e32 v[4:5], 2, v[4:5]
	v_add_f16_e32 v31, v55, v56
	v_add_f16_e32 v55, v69, v70
	;; [unrolled: 1-line block ×3, first 2 shown]
	v_mad_co_u64_u32 v[2:3], null, s9, v15, v[2:3]
	v_mov_b32_e32 v3, v9
	v_add_f16_e32 v60, v77, v78
	v_add_f16_e32 v62, v80, v81
	;; [unrolled: 1-line block ×4, first 2 shown]
	v_mad_co_u64_u32 v[12:13], null, s9, v12, v[3:4]
	v_add_f16_e32 v27, v31, v66
	v_add_f16_e32 v31, v55, v71
	v_add_f16_e32 v39, v56, v74
	v_add_f16_e32 v48, v60, v79
	v_add_f16_e32 v49, v62, v82
	v_add_f16_e32 v52, v69, v87
	v_mov_b32_e32 v9, v12
	v_add_co_u32 v0, vcc_lo, v25, v0
	v_mov_b32_e32 v11, v2
	v_add_f16_e32 v32, v32, v90
	s_wait_alu 0xfffd
	v_add_co_ci_u32_e32 v1, vcc_lo, v33, v1, vcc_lo
	v_lshlrev_b64_e32 v[6:7], 2, v[6:7]
	v_add_f16_e32 v22, v27, v67
	v_add_f16_e32 v27, v31, v58
	v_add_co_u32 v2, vcc_lo, v25, v4
	v_add_f16_e32 v31, v39, v75
	v_add_f16_e32 v39, v48, v93
	;; [unrolled: 1-line block ×4, first 2 shown]
	s_wait_alu 0xfffd
	v_add_co_ci_u32_e32 v3, vcc_lo, v33, v5, vcc_lo
	v_lshlrev_b64_e32 v[4:5], 2, v[10:11]
	v_add_f16_e32 v32, v32, v91
	v_add_f16_e32 v20, v22, v68
	v_add_f16_e32 v22, v27, v96
	v_add_co_u32 v6, vcc_lo, v25, v6
	v_lshlrev_b64_e32 v[8:9], 2, v[8:9]
	v_add_f16_e32 v24, v31, v76
	v_add_f16_e32 v27, v39, v97
	;; [unrolled: 1-line block ×4, first 2 shown]
	s_wait_alu 0xfffd
	v_add_co_ci_u32_e32 v7, vcc_lo, v33, v7, vcc_lo
	v_add_f16_e32 v32, v32, v92
	v_add_f16_e32 v30, v30, v45
	v_add_co_u32 v4, vcc_lo, v25, v4
	v_pack_b32_f16 v14, v43, v42
	v_pack_b32_f16 v13, v22, v20
	s_wait_alu 0xfffd
	v_add_co_ci_u32_e32 v5, vcc_lo, v33, v5, vcc_lo
	v_pack_b32_f16 v10, v27, v24
	v_add_co_u32 v8, vcc_lo, v25, v8
	v_pack_b32_f16 v11, v39, v31
	s_wait_alu 0xfffd
	v_add_co_ci_u32_e32 v9, vcc_lo, v33, v9, vcc_lo
	v_pack_b32_f16 v12, v30, v32
	s_clause 0x4
	global_store_b32 v[0:1], v14, off
	global_store_b32 v[2:3], v13, off
	;; [unrolled: 1-line block ×5, first 2 shown]
.LBB0_16:
	s_nop 0
	s_sendmsg sendmsg(MSG_DEALLOC_VGPRS)
	s_endpgm
	.section	.rodata,"a",@progbits
	.p2align	6, 0x0
	.amdhsa_kernel fft_rtc_back_len143_factors_13_11_wgs_182_tpt_13_half_ip_CI_sbrr_dirReg
		.amdhsa_group_segment_fixed_size 0
		.amdhsa_private_segment_fixed_size 0
		.amdhsa_kernarg_size 88
		.amdhsa_user_sgpr_count 2
		.amdhsa_user_sgpr_dispatch_ptr 0
		.amdhsa_user_sgpr_queue_ptr 0
		.amdhsa_user_sgpr_kernarg_segment_ptr 1
		.amdhsa_user_sgpr_dispatch_id 0
		.amdhsa_user_sgpr_private_segment_size 0
		.amdhsa_wavefront_size32 1
		.amdhsa_uses_dynamic_stack 0
		.amdhsa_enable_private_segment 0
		.amdhsa_system_sgpr_workgroup_id_x 1
		.amdhsa_system_sgpr_workgroup_id_y 0
		.amdhsa_system_sgpr_workgroup_id_z 0
		.amdhsa_system_sgpr_workgroup_info 0
		.amdhsa_system_vgpr_workitem_id 0
		.amdhsa_next_free_vgpr 135
		.amdhsa_next_free_sgpr 35
		.amdhsa_reserve_vcc 1
		.amdhsa_float_round_mode_32 0
		.amdhsa_float_round_mode_16_64 0
		.amdhsa_float_denorm_mode_32 3
		.amdhsa_float_denorm_mode_16_64 3
		.amdhsa_fp16_overflow 0
		.amdhsa_workgroup_processor_mode 1
		.amdhsa_memory_ordered 1
		.amdhsa_forward_progress 0
		.amdhsa_round_robin_scheduling 0
		.amdhsa_exception_fp_ieee_invalid_op 0
		.amdhsa_exception_fp_denorm_src 0
		.amdhsa_exception_fp_ieee_div_zero 0
		.amdhsa_exception_fp_ieee_overflow 0
		.amdhsa_exception_fp_ieee_underflow 0
		.amdhsa_exception_fp_ieee_inexact 0
		.amdhsa_exception_int_div_zero 0
	.end_amdhsa_kernel
	.text
.Lfunc_end0:
	.size	fft_rtc_back_len143_factors_13_11_wgs_182_tpt_13_half_ip_CI_sbrr_dirReg, .Lfunc_end0-fft_rtc_back_len143_factors_13_11_wgs_182_tpt_13_half_ip_CI_sbrr_dirReg
                                        ; -- End function
	.section	.AMDGPU.csdata,"",@progbits
; Kernel info:
; codeLenInByte = 8460
; NumSgprs: 37
; NumVgprs: 135
; ScratchSize: 0
; MemoryBound: 0
; FloatMode: 240
; IeeeMode: 1
; LDSByteSize: 0 bytes/workgroup (compile time only)
; SGPRBlocks: 4
; VGPRBlocks: 16
; NumSGPRsForWavesPerEU: 37
; NumVGPRsForWavesPerEU: 135
; Occupancy: 10
; WaveLimiterHint : 1
; COMPUTE_PGM_RSRC2:SCRATCH_EN: 0
; COMPUTE_PGM_RSRC2:USER_SGPR: 2
; COMPUTE_PGM_RSRC2:TRAP_HANDLER: 0
; COMPUTE_PGM_RSRC2:TGID_X_EN: 1
; COMPUTE_PGM_RSRC2:TGID_Y_EN: 0
; COMPUTE_PGM_RSRC2:TGID_Z_EN: 0
; COMPUTE_PGM_RSRC2:TIDIG_COMP_CNT: 0
	.text
	.p2alignl 7, 3214868480
	.fill 96, 4, 3214868480
	.type	__hip_cuid_469eccb5fac271ae,@object ; @__hip_cuid_469eccb5fac271ae
	.section	.bss,"aw",@nobits
	.globl	__hip_cuid_469eccb5fac271ae
__hip_cuid_469eccb5fac271ae:
	.byte	0                               ; 0x0
	.size	__hip_cuid_469eccb5fac271ae, 1

	.ident	"AMD clang version 19.0.0git (https://github.com/RadeonOpenCompute/llvm-project roc-6.4.0 25133 c7fe45cf4b819c5991fe208aaa96edf142730f1d)"
	.section	".note.GNU-stack","",@progbits
	.addrsig
	.addrsig_sym __hip_cuid_469eccb5fac271ae
	.amdgpu_metadata
---
amdhsa.kernels:
  - .args:
      - .actual_access:  read_only
        .address_space:  global
        .offset:         0
        .size:           8
        .value_kind:     global_buffer
      - .offset:         8
        .size:           8
        .value_kind:     by_value
      - .actual_access:  read_only
        .address_space:  global
        .offset:         16
        .size:           8
        .value_kind:     global_buffer
      - .actual_access:  read_only
        .address_space:  global
        .offset:         24
        .size:           8
        .value_kind:     global_buffer
      - .offset:         32
        .size:           8
        .value_kind:     by_value
      - .actual_access:  read_only
        .address_space:  global
        .offset:         40
        .size:           8
        .value_kind:     global_buffer
      - .actual_access:  read_only
        .address_space:  global
        .offset:         48
        .size:           8
        .value_kind:     global_buffer
      - .offset:         56
        .size:           4
        .value_kind:     by_value
      - .actual_access:  read_only
        .address_space:  global
        .offset:         64
        .size:           8
        .value_kind:     global_buffer
      - .actual_access:  read_only
        .address_space:  global
        .offset:         72
        .size:           8
        .value_kind:     global_buffer
      - .address_space:  global
        .offset:         80
        .size:           8
        .value_kind:     global_buffer
    .group_segment_fixed_size: 0
    .kernarg_segment_align: 8
    .kernarg_segment_size: 88
    .language:       OpenCL C
    .language_version:
      - 2
      - 0
    .max_flat_workgroup_size: 182
    .name:           fft_rtc_back_len143_factors_13_11_wgs_182_tpt_13_half_ip_CI_sbrr_dirReg
    .private_segment_fixed_size: 0
    .sgpr_count:     37
    .sgpr_spill_count: 0
    .symbol:         fft_rtc_back_len143_factors_13_11_wgs_182_tpt_13_half_ip_CI_sbrr_dirReg.kd
    .uniform_work_group_size: 1
    .uses_dynamic_stack: false
    .vgpr_count:     135
    .vgpr_spill_count: 0
    .wavefront_size: 32
    .workgroup_processor_mode: 1
amdhsa.target:   amdgcn-amd-amdhsa--gfx1201
amdhsa.version:
  - 1
  - 2
...

	.end_amdgpu_metadata
